;; amdgpu-corpus repo=ROCm/rocFFT kind=compiled arch=gfx906 opt=O3
	.text
	.amdgcn_target "amdgcn-amd-amdhsa--gfx906"
	.amdhsa_code_object_version 6
	.protected	fft_rtc_back_len1760_factors_2_2_2_2_2_11_5_wgs_176_tpt_176_halfLds_sp_op_CI_CI_sbrr_dirReg ; -- Begin function fft_rtc_back_len1760_factors_2_2_2_2_2_11_5_wgs_176_tpt_176_halfLds_sp_op_CI_CI_sbrr_dirReg
	.globl	fft_rtc_back_len1760_factors_2_2_2_2_2_11_5_wgs_176_tpt_176_halfLds_sp_op_CI_CI_sbrr_dirReg
	.p2align	8
	.type	fft_rtc_back_len1760_factors_2_2_2_2_2_11_5_wgs_176_tpt_176_halfLds_sp_op_CI_CI_sbrr_dirReg,@function
fft_rtc_back_len1760_factors_2_2_2_2_2_11_5_wgs_176_tpt_176_halfLds_sp_op_CI_CI_sbrr_dirReg: ; @fft_rtc_back_len1760_factors_2_2_2_2_2_11_5_wgs_176_tpt_176_halfLds_sp_op_CI_CI_sbrr_dirReg
; %bb.0:
	s_load_dwordx4 s[16:19], s[4:5], 0x18
	s_load_dwordx4 s[12:15], s[4:5], 0x0
	;; [unrolled: 1-line block ×3, first 2 shown]
	v_mul_u32_u24_e32 v1, 0x175, v0
	v_mov_b32_e32 v7, 0
	s_waitcnt lgkmcnt(0)
	s_load_dwordx2 s[20:21], s[16:17], 0x0
	s_load_dwordx2 s[2:3], s[18:19], 0x0
	v_cmp_lt_u64_e64 s[0:1], s[14:15], 2
	v_mov_b32_e32 v5, 0
	v_add_u32_sdwa v9, s6, v1 dst_sel:DWORD dst_unused:UNUSED_PAD src0_sel:DWORD src1_sel:WORD_1
	v_mov_b32_e32 v10, v7
	s_and_b64 vcc, exec, s[0:1]
	v_mov_b32_e32 v6, 0
	s_cbranch_vccnz .LBB0_8
; %bb.1:
	s_load_dwordx2 s[0:1], s[4:5], 0x10
	s_add_u32 s6, s18, 8
	s_addc_u32 s7, s19, 0
	s_add_u32 s22, s16, 8
	s_addc_u32 s23, s17, 0
	v_mov_b32_e32 v5, 0
	s_waitcnt lgkmcnt(0)
	s_add_u32 s24, s0, 8
	v_mov_b32_e32 v6, 0
	v_mov_b32_e32 v1, v5
	s_addc_u32 s25, s1, 0
	s_mov_b64 s[26:27], 1
	v_mov_b32_e32 v2, v6
.LBB0_2:                                ; =>This Inner Loop Header: Depth=1
	s_load_dwordx2 s[28:29], s[24:25], 0x0
                                        ; implicit-def: $vgpr3_vgpr4
	s_waitcnt lgkmcnt(0)
	v_or_b32_e32 v8, s29, v10
	v_cmp_ne_u64_e32 vcc, 0, v[7:8]
	s_and_saveexec_b64 s[0:1], vcc
	s_xor_b64 s[30:31], exec, s[0:1]
	s_cbranch_execz .LBB0_4
; %bb.3:                                ;   in Loop: Header=BB0_2 Depth=1
	v_cvt_f32_u32_e32 v3, s28
	v_cvt_f32_u32_e32 v4, s29
	s_sub_u32 s0, 0, s28
	s_subb_u32 s1, 0, s29
	v_mac_f32_e32 v3, 0x4f800000, v4
	v_rcp_f32_e32 v3, v3
	v_mul_f32_e32 v3, 0x5f7ffffc, v3
	v_mul_f32_e32 v4, 0x2f800000, v3
	v_trunc_f32_e32 v4, v4
	v_mac_f32_e32 v3, 0xcf800000, v4
	v_cvt_u32_f32_e32 v4, v4
	v_cvt_u32_f32_e32 v3, v3
	v_mul_lo_u32 v8, s0, v4
	v_mul_hi_u32 v11, s0, v3
	v_mul_lo_u32 v13, s1, v3
	v_mul_lo_u32 v12, s0, v3
	v_add_u32_e32 v8, v11, v8
	v_add_u32_e32 v8, v8, v13
	v_mul_hi_u32 v11, v3, v12
	v_mul_lo_u32 v13, v3, v8
	v_mul_hi_u32 v15, v3, v8
	v_mul_hi_u32 v14, v4, v12
	v_mul_lo_u32 v12, v4, v12
	v_mul_hi_u32 v16, v4, v8
	v_add_co_u32_e32 v11, vcc, v11, v13
	v_addc_co_u32_e32 v13, vcc, 0, v15, vcc
	v_mul_lo_u32 v8, v4, v8
	v_add_co_u32_e32 v11, vcc, v11, v12
	v_addc_co_u32_e32 v11, vcc, v13, v14, vcc
	v_addc_co_u32_e32 v12, vcc, 0, v16, vcc
	v_add_co_u32_e32 v8, vcc, v11, v8
	v_addc_co_u32_e32 v11, vcc, 0, v12, vcc
	v_add_co_u32_e32 v3, vcc, v3, v8
	v_addc_co_u32_e32 v4, vcc, v4, v11, vcc
	v_mul_lo_u32 v8, s0, v4
	v_mul_hi_u32 v11, s0, v3
	v_mul_lo_u32 v12, s1, v3
	v_mul_lo_u32 v13, s0, v3
	v_add_u32_e32 v8, v11, v8
	v_add_u32_e32 v8, v8, v12
	v_mul_lo_u32 v14, v3, v8
	v_mul_hi_u32 v15, v3, v13
	v_mul_hi_u32 v16, v3, v8
	;; [unrolled: 1-line block ×3, first 2 shown]
	v_mul_lo_u32 v13, v4, v13
	v_mul_hi_u32 v11, v4, v8
	v_add_co_u32_e32 v14, vcc, v15, v14
	v_addc_co_u32_e32 v15, vcc, 0, v16, vcc
	v_mul_lo_u32 v8, v4, v8
	v_add_co_u32_e32 v13, vcc, v14, v13
	v_addc_co_u32_e32 v12, vcc, v15, v12, vcc
	v_addc_co_u32_e32 v11, vcc, 0, v11, vcc
	v_add_co_u32_e32 v8, vcc, v12, v8
	v_addc_co_u32_e32 v11, vcc, 0, v11, vcc
	v_add_co_u32_e32 v8, vcc, v3, v8
	v_addc_co_u32_e32 v11, vcc, v4, v11, vcc
	v_mad_u64_u32 v[3:4], s[0:1], v9, v11, 0
	v_mul_hi_u32 v12, v9, v8
	v_add_co_u32_e32 v13, vcc, v12, v3
	v_addc_co_u32_e32 v14, vcc, 0, v4, vcc
	v_mad_u64_u32 v[3:4], s[0:1], v10, v8, 0
	v_mad_u64_u32 v[11:12], s[0:1], v10, v11, 0
	v_add_co_u32_e32 v3, vcc, v13, v3
	v_addc_co_u32_e32 v3, vcc, v14, v4, vcc
	v_addc_co_u32_e32 v4, vcc, 0, v12, vcc
	v_add_co_u32_e32 v8, vcc, v3, v11
	v_addc_co_u32_e32 v11, vcc, 0, v4, vcc
	v_mul_lo_u32 v12, s29, v8
	v_mul_lo_u32 v13, s28, v11
	v_mad_u64_u32 v[3:4], s[0:1], s28, v8, 0
	v_add3_u32 v4, v4, v13, v12
	v_sub_u32_e32 v12, v10, v4
	v_mov_b32_e32 v13, s29
	v_sub_co_u32_e32 v3, vcc, v9, v3
	v_subb_co_u32_e64 v12, s[0:1], v12, v13, vcc
	v_subrev_co_u32_e64 v13, s[0:1], s28, v3
	v_subbrev_co_u32_e64 v12, s[0:1], 0, v12, s[0:1]
	v_cmp_le_u32_e64 s[0:1], s29, v12
	v_cndmask_b32_e64 v14, 0, -1, s[0:1]
	v_cmp_le_u32_e64 s[0:1], s28, v13
	v_cndmask_b32_e64 v13, 0, -1, s[0:1]
	v_cmp_eq_u32_e64 s[0:1], s29, v12
	v_cndmask_b32_e64 v12, v14, v13, s[0:1]
	v_add_co_u32_e64 v13, s[0:1], 2, v8
	v_addc_co_u32_e64 v14, s[0:1], 0, v11, s[0:1]
	v_add_co_u32_e64 v15, s[0:1], 1, v8
	v_addc_co_u32_e64 v16, s[0:1], 0, v11, s[0:1]
	v_subb_co_u32_e32 v4, vcc, v10, v4, vcc
	v_cmp_ne_u32_e64 s[0:1], 0, v12
	v_cmp_le_u32_e32 vcc, s29, v4
	v_cndmask_b32_e64 v12, v16, v14, s[0:1]
	v_cndmask_b32_e64 v14, 0, -1, vcc
	v_cmp_le_u32_e32 vcc, s28, v3
	v_cndmask_b32_e64 v3, 0, -1, vcc
	v_cmp_eq_u32_e32 vcc, s29, v4
	v_cndmask_b32_e32 v3, v14, v3, vcc
	v_cmp_ne_u32_e32 vcc, 0, v3
	v_cndmask_b32_e64 v3, v15, v13, s[0:1]
	v_cndmask_b32_e32 v4, v11, v12, vcc
	v_cndmask_b32_e32 v3, v8, v3, vcc
.LBB0_4:                                ;   in Loop: Header=BB0_2 Depth=1
	s_andn2_saveexec_b64 s[0:1], s[30:31]
	s_cbranch_execz .LBB0_6
; %bb.5:                                ;   in Loop: Header=BB0_2 Depth=1
	v_cvt_f32_u32_e32 v3, s28
	s_sub_i32 s30, 0, s28
	v_rcp_iflag_f32_e32 v3, v3
	v_mul_f32_e32 v3, 0x4f7ffffe, v3
	v_cvt_u32_f32_e32 v3, v3
	v_mul_lo_u32 v4, s30, v3
	v_mul_hi_u32 v4, v3, v4
	v_add_u32_e32 v3, v3, v4
	v_mul_hi_u32 v3, v9, v3
	v_mul_lo_u32 v4, v3, s28
	v_add_u32_e32 v8, 1, v3
	v_sub_u32_e32 v4, v9, v4
	v_subrev_u32_e32 v11, s28, v4
	v_cmp_le_u32_e32 vcc, s28, v4
	v_cndmask_b32_e32 v4, v4, v11, vcc
	v_cndmask_b32_e32 v3, v3, v8, vcc
	v_add_u32_e32 v8, 1, v3
	v_cmp_le_u32_e32 vcc, s28, v4
	v_cndmask_b32_e32 v3, v3, v8, vcc
	v_mov_b32_e32 v4, v7
.LBB0_6:                                ;   in Loop: Header=BB0_2 Depth=1
	s_or_b64 exec, exec, s[0:1]
	v_mul_lo_u32 v8, v4, s28
	v_mul_lo_u32 v13, v3, s29
	v_mad_u64_u32 v[11:12], s[0:1], v3, s28, 0
	s_load_dwordx2 s[0:1], s[22:23], 0x0
	s_load_dwordx2 s[28:29], s[6:7], 0x0
	v_add3_u32 v8, v12, v13, v8
	v_sub_co_u32_e32 v9, vcc, v9, v11
	v_subb_co_u32_e32 v8, vcc, v10, v8, vcc
	s_waitcnt lgkmcnt(0)
	v_mul_lo_u32 v10, s0, v8
	v_mul_lo_u32 v11, s1, v9
	v_mad_u64_u32 v[5:6], s[0:1], s0, v9, v[5:6]
	v_mul_lo_u32 v8, s28, v8
	v_mul_lo_u32 v12, s29, v9
	v_mad_u64_u32 v[1:2], s[0:1], s28, v9, v[1:2]
	s_add_u32 s26, s26, 1
	s_addc_u32 s27, s27, 0
	s_add_u32 s6, s6, 8
	v_add3_u32 v2, v12, v2, v8
	s_addc_u32 s7, s7, 0
	v_mov_b32_e32 v8, s14
	s_add_u32 s22, s22, 8
	v_mov_b32_e32 v9, s15
	s_addc_u32 s23, s23, 0
	v_cmp_ge_u64_e32 vcc, s[26:27], v[8:9]
	s_add_u32 s24, s24, 8
	v_add3_u32 v6, v11, v6, v10
	s_addc_u32 s25, s25, 0
	s_cbranch_vccnz .LBB0_9
; %bb.7:                                ;   in Loop: Header=BB0_2 Depth=1
	v_mov_b32_e32 v10, v4
	v_mov_b32_e32 v9, v3
	s_branch .LBB0_2
.LBB0_8:
	v_mov_b32_e32 v1, v5
	v_mov_b32_e32 v3, v9
	;; [unrolled: 1-line block ×4, first 2 shown]
.LBB0_9:
	s_load_dwordx2 s[0:1], s[4:5], 0x28
	s_lshl_b64 s[14:15], s[14:15], 3
	s_add_u32 s4, s18, s14
	s_addc_u32 s5, s19, s15
                                        ; implicit-def: $sgpr18_sgpr19
                                        ; implicit-def: $vgpr28
                                        ; implicit-def: $vgpr26
                                        ; implicit-def: $vgpr27
                                        ; implicit-def: $vgpr37
                                        ; implicit-def: $vgpr38
	s_waitcnt lgkmcnt(0)
	v_cmp_gt_u64_e32 vcc, s[0:1], v[3:4]
	v_cmp_le_u64_e64 s[0:1], s[0:1], v[3:4]
	s_and_saveexec_b64 s[6:7], s[0:1]
	s_xor_b64 s[0:1], exec, s[6:7]
; %bb.10:
	s_mov_b32 s6, 0x1745d18
	v_mul_hi_u32 v5, v0, s6
	s_mov_b64 s[18:19], 0
	v_mul_u32_u24_e32 v5, 0xb0, v5
	v_sub_u32_e32 v28, v0, v5
	v_add_u32_e32 v26, 0xb0, v28
	v_add_u32_e32 v27, 0x160, v28
	;; [unrolled: 1-line block ×4, first 2 shown]
                                        ; implicit-def: $vgpr0
                                        ; implicit-def: $vgpr5_vgpr6
; %bb.11:
	s_or_saveexec_b64 s[6:7], s[0:1]
	v_mov_b32_e32 v23, s19
	v_mov_b32_e32 v16, s18
	v_mov_b32_e32 v18, s18
	v_mov_b32_e32 v21, s19
	v_mov_b32_e32 v12, s18
	v_mov_b32_e32 v22, s18
	v_mov_b32_e32 v17, s19
	v_mov_b32_e32 v19, s19
	v_mov_b32_e32 v20, s18
	v_mov_b32_e32 v13, s19
                                        ; implicit-def: $vgpr25
                                        ; implicit-def: $vgpr9
                                        ; implicit-def: $vgpr11
                                        ; implicit-def: $vgpr7
                                        ; implicit-def: $vgpr15
	s_xor_b64 exec, exec, s[6:7]
	s_cbranch_execz .LBB0_13
; %bb.12:
	s_add_u32 s0, s16, s14
	s_mov_b32 s14, 0x1745d18
	v_mul_hi_u32 v7, v0, s14
	s_addc_u32 s1, s17, s15
	s_load_dwordx2 s[0:1], s[0:1], 0x0
	v_lshlrev_b64 v[5:6], 3, v[5:6]
	v_mul_u32_u24_e32 v7, 0xb0, v7
	v_sub_u32_e32 v28, v0, v7
	v_mad_u64_u32 v[7:8], s[14:15], s20, v28, 0
	s_waitcnt lgkmcnt(0)
	v_mul_lo_u32 v13, s1, v3
	v_mul_lo_u32 v14, s0, v4
	v_mad_u64_u32 v[9:10], s[0:1], s0, v3, 0
	v_mov_b32_e32 v0, v8
	v_mad_u64_u32 v[11:12], s[0:1], s21, v28, v[0:1]
	v_add3_u32 v10, v10, v14, v13
	v_lshlrev_b64 v[9:10], 3, v[9:10]
	v_mov_b32_e32 v8, v11
	v_mov_b32_e32 v0, s9
	v_add_co_u32_e64 v11, s[0:1], s8, v9
	v_add_u32_e32 v12, 0x370, v28
	v_addc_co_u32_e64 v0, s[0:1], v0, v10, s[0:1]
	v_mad_u64_u32 v[9:10], s[0:1], s20, v12, 0
	v_add_co_u32_e64 v13, s[0:1], v11, v5
	v_addc_co_u32_e64 v14, s[0:1], v0, v6, s[0:1]
	v_mov_b32_e32 v0, v10
	v_add_u32_e32 v26, 0xb0, v28
	v_lshlrev_b64 v[5:6], 3, v[7:8]
	v_mad_u64_u32 v[7:8], s[0:1], s21, v12, v[0:1]
	v_mad_u64_u32 v[11:12], s[0:1], s20, v26, 0
	v_add_co_u32_e64 v29, s[0:1], v13, v5
	v_mov_b32_e32 v10, v7
	v_mov_b32_e32 v0, v12
	v_addc_co_u32_e64 v30, s[0:1], v14, v6, s[0:1]
	v_lshlrev_b64 v[5:6], 3, v[9:10]
	v_mad_u64_u32 v[7:8], s[0:1], s21, v26, v[0:1]
	v_add_u32_e32 v10, 0x420, v28
	v_mad_u64_u32 v[8:9], s[0:1], s20, v10, 0
	v_add_co_u32_e64 v31, s[0:1], v13, v5
	v_mov_b32_e32 v0, v9
	v_addc_co_u32_e64 v32, s[0:1], v14, v6, s[0:1]
	v_mov_b32_e32 v12, v7
	v_mad_u64_u32 v[9:10], s[0:1], s21, v10, v[0:1]
	v_add_u32_e32 v27, 0x160, v28
	v_lshlrev_b64 v[5:6], 3, v[11:12]
	v_mad_u64_u32 v[10:11], s[0:1], s20, v27, 0
	v_add_co_u32_e64 v33, s[0:1], v13, v5
	v_mov_b32_e32 v0, v11
	v_addc_co_u32_e64 v34, s[0:1], v14, v6, s[0:1]
	v_lshlrev_b64 v[5:6], 3, v[8:9]
	v_mad_u64_u32 v[7:8], s[0:1], s21, v27, v[0:1]
	v_add_u32_e32 v12, 0x4d0, v28
	v_mad_u64_u32 v[8:9], s[0:1], s20, v12, 0
	v_add_co_u32_e64 v35, s[0:1], v13, v5
	v_mov_b32_e32 v11, v7
	v_mov_b32_e32 v0, v9
	v_addc_co_u32_e64 v36, s[0:1], v14, v6, s[0:1]
	v_lshlrev_b64 v[5:6], 3, v[10:11]
	v_mad_u64_u32 v[9:10], s[0:1], s21, v12, v[0:1]
	v_add_u32_e32 v37, 0x210, v28
	v_mad_u64_u32 v[10:11], s[0:1], s20, v37, 0
	v_add_co_u32_e64 v39, s[0:1], v13, v5
	v_mov_b32_e32 v0, v11
	v_addc_co_u32_e64 v40, s[0:1], v14, v6, s[0:1]
	v_lshlrev_b64 v[5:6], 3, v[8:9]
	v_mad_u64_u32 v[7:8], s[0:1], s21, v37, v[0:1]
	v_add_u32_e32 v12, 0x580, v28
	v_mad_u64_u32 v[8:9], s[0:1], s20, v12, 0
	v_add_co_u32_e64 v41, s[0:1], v13, v5
	v_mov_b32_e32 v11, v7
	v_mov_b32_e32 v0, v9
	v_addc_co_u32_e64 v42, s[0:1], v14, v6, s[0:1]
	v_lshlrev_b64 v[5:6], 3, v[10:11]
	v_mad_u64_u32 v[9:10], s[0:1], s21, v12, v[0:1]
	v_add_u32_e32 v38, 0x2c0, v28
	v_mad_u64_u32 v[10:11], s[0:1], s20, v38, 0
	v_add_co_u32_e64 v43, s[0:1], v13, v5
	v_mov_b32_e32 v0, v11
	v_addc_co_u32_e64 v44, s[0:1], v14, v6, s[0:1]
	v_lshlrev_b64 v[5:6], 3, v[8:9]
	v_mad_u64_u32 v[7:8], s[0:1], s21, v38, v[0:1]
	v_add_u32_e32 v12, 0x630, v28
	v_mad_u64_u32 v[8:9], s[0:1], s20, v12, 0
	v_add_co_u32_e64 v45, s[0:1], v13, v5
	v_mov_b32_e32 v11, v7
	v_mov_b32_e32 v0, v9
	v_addc_co_u32_e64 v46, s[0:1], v14, v6, s[0:1]
	v_lshlrev_b64 v[5:6], 3, v[10:11]
	v_mad_u64_u32 v[9:10], s[0:1], s21, v12, v[0:1]
	v_add_co_u32_e64 v47, s[0:1], v13, v5
	v_addc_co_u32_e64 v48, s[0:1], v14, v6, s[0:1]
	v_lshlrev_b64 v[5:6], 3, v[8:9]
	v_add_co_u32_e64 v49, s[0:1], v13, v5
	v_addc_co_u32_e64 v50, s[0:1], v14, v6, s[0:1]
	global_load_dwordx2 v[22:23], v[29:30], off
	global_load_dwordx2 v[24:25], v[31:32], off
	;; [unrolled: 1-line block ×10, first 2 shown]
.LBB0_13:
	s_or_b64 exec, exec, s[6:7]
	s_waitcnt vmcnt(8)
	v_sub_f32_e32 v30, v22, v24
	v_fma_f32 v29, v22, 2.0, -v30
	s_waitcnt vmcnt(6)
	v_sub_f32_e32 v32, v16, v8
	v_lshl_add_u32 v8, v28, 3, 0
	v_fma_f32 v31, v16, 2.0, -v32
	s_waitcnt vmcnt(4)
	v_sub_f32_e32 v34, v18, v10
	s_waitcnt vmcnt(2)
	v_sub_f32_e32 v36, v20, v14
	ds_write_b64 v8, v[29:30]
	v_lshl_add_u32 v29, v26, 3, 0
	s_waitcnt vmcnt(0)
	v_sub_f32_e32 v6, v12, v6
	v_fma_f32 v33, v18, 2.0, -v34
	v_fma_f32 v35, v20, 2.0, -v36
	ds_write_b64 v29, v[31:32]
	v_fma_f32 v5, v12, 2.0, -v6
	v_lshl_add_u32 v30, v27, 3, 0
	v_lshl_add_u32 v16, v37, 3, 0
	;; [unrolled: 1-line block ×3, first 2 shown]
	v_sub_f32_e32 v24, v23, v25
	ds_write_b64 v30, v[33:34]
	ds_write_b64 v16, v[35:36]
	;; [unrolled: 1-line block ×3, first 2 shown]
	v_lshlrev_b32_e32 v5, 2, v28
	v_lshlrev_b32_e32 v6, 2, v37
	v_fma_f32 v23, v23, 2.0, -v24
	v_sub_u32_e32 v0, v8, v5
	v_sub_u32_e32 v18, v16, v6
	v_lshlrev_b32_e32 v6, 2, v26
	v_lshlrev_b32_e32 v32, 2, v27
	;; [unrolled: 1-line block ×3, first 2 shown]
	v_sub_f32_e32 v9, v17, v9
	s_load_dwordx2 s[4:5], s[4:5], 0x0
	s_waitcnt lgkmcnt(0)
	s_barrier
	ds_read_b32 v20, v0
	v_add_u32_e32 v25, 0xd00, v0
	v_sub_u32_e32 v34, v29, v6
	v_sub_u32_e32 v35, v30, v32
	v_add_u32_e32 v10, 0x1300, v0
	v_sub_u32_e32 v36, v31, v33
	ds_read_b32 v22, v18
	ds_read_b32 v43, v36
	;; [unrolled: 1-line block ×4, first 2 shown]
	ds_read_b32 v46, v0 offset:6336
	ds_read2_b32 v[39:40], v25 offset0:48 offset1:224
	ds_read2_b32 v[41:42], v10 offset0:16 offset1:192
	s_waitcnt lgkmcnt(0)
	s_barrier
	ds_write_b64 v8, v[23:24]
	v_fma_f32 v8, v17, 2.0, -v9
	v_sub_f32_e32 v12, v19, v11
	v_sub_f32_e32 v15, v21, v15
	v_fma_f32 v11, v19, 2.0, -v12
	v_fma_f32 v14, v21, 2.0, -v15
	ds_write_b64 v29, v[8:9]
	ds_write_b64 v30, v[11:12]
	;; [unrolled: 1-line block ×3, first 2 shown]
	v_sub_f32_e32 v8, v13, v7
	v_fma_f32 v7, v13, 2.0, -v8
	v_and_b32_e32 v9, 1, v28
	ds_write_b64 v31, v[7:8]
	v_lshlrev_b32_e32 v7, 3, v9
	s_waitcnt lgkmcnt(0)
	s_barrier
	global_load_dwordx2 v[7:8], v7, s[12:13]
	ds_read2_b32 v[11:12], v25 offset0:48 offset1:224
	ds_read2_b32 v[13:14], v10 offset0:16 offset1:192
	s_movk_i32 s0, 0x1fc
	v_lshlrev_b32_e32 v48, 1, v26
	v_lshlrev_b32_e32 v49, 1, v38
	s_waitcnt vmcnt(0) lgkmcnt(1)
	v_mul_f32_e32 v15, v11, v8
	v_mul_f32_e32 v16, v12, v8
	;; [unrolled: 1-line block ×4, first 2 shown]
	s_waitcnt lgkmcnt(0)
	v_mul_f32_e32 v21, v13, v8
	v_mul_f32_e32 v23, v14, v8
	;; [unrolled: 1-line block ×4, first 2 shown]
	v_fmac_f32_e32 v15, v39, v7
	v_fmac_f32_e32 v16, v40, v7
	v_fma_f32 v11, v11, v7, -v17
	v_fma_f32 v17, v12, v7, -v19
	v_fmac_f32_e32 v21, v41, v7
	v_fmac_f32_e32 v23, v42, v7
	v_fma_f32 v13, v13, v7, -v24
	v_fma_f32 v14, v14, v7, -v47
	ds_read_b32 v12, v0 offset:6336
	ds_read_b32 v19, v18
	ds_read_b32 v24, v36
	;; [unrolled: 1-line block ×5, first 2 shown]
	s_waitcnt lgkmcnt(5)
	v_mul_f32_e32 v42, v12, v8
	v_mul_f32_e32 v8, v46, v8
	v_lshlrev_b32_e32 v47, 1, v28
	v_fmac_f32_e32 v42, v46, v7
	v_fma_f32 v46, v12, v7, -v8
	v_sub_f32_e32 v7, v20, v15
	v_and_or_b32 v12, v47, s0, v9
	v_fma_f32 v8, v20, 2.0, -v7
	v_lshl_add_u32 v15, v12, 2, 0
	s_movk_i32 s0, 0x3fc
	s_waitcnt lgkmcnt(0)
	s_barrier
	ds_write2_b32 v15, v8, v7 offset1:2
	v_sub_f32_e32 v7, v45, v16
	v_and_or_b32 v12, v48, s0, v9
	v_fma_f32 v8, v45, 2.0, -v7
	v_lshl_add_u32 v16, v12, 2, 0
	v_lshlrev_b32_e32 v45, 1, v27
	s_movk_i32 s0, 0x7fc
	ds_write2_b32 v16, v8, v7 offset1:2
	v_sub_f32_e32 v7, v44, v21
	v_and_or_b32 v12, v45, s0, v9
	v_fma_f32 v8, v44, 2.0, -v7
	v_lshl_add_u32 v20, v12, 2, 0
	v_lshlrev_b32_e32 v44, 1, v37
	ds_write2_b32 v20, v8, v7 offset1:2
	v_sub_f32_e32 v7, v22, v23
	v_and_or_b32 v12, v44, s0, v9
	v_fma_f32 v8, v22, 2.0, -v7
	v_lshl_add_u32 v21, v12, 2, 0
	ds_write2_b32 v21, v8, v7 offset1:2
	v_sub_f32_e32 v7, v43, v42
	v_and_or_b32 v9, v49, s0, v9
	v_sub_f32_e32 v22, v41, v11
	v_fma_f32 v8, v43, 2.0, -v7
	v_lshl_add_u32 v9, v9, 2, 0
	v_fma_f32 v23, v41, 2.0, -v22
	ds_write2_b32 v9, v8, v7 offset1:2
	s_waitcnt lgkmcnt(0)
	s_barrier
	ds_read_b32 v26, v0
	ds_read_b32 v27, v18
	;; [unrolled: 1-line block ×5, first 2 shown]
	ds_read_b32 v42, v0 offset:6336
	ds_read2_b32 v[7:8], v25 offset0:48 offset1:224
	ds_read2_b32 v[11:12], v10 offset0:16 offset1:192
	s_waitcnt lgkmcnt(0)
	s_barrier
	ds_write2_b32 v15, v23, v22 offset1:2
	v_sub_f32_e32 v15, v40, v17
	v_fma_f32 v17, v40, 2.0, -v15
	v_sub_f32_e32 v13, v39, v13
	ds_write2_b32 v16, v17, v15 offset1:2
	v_fma_f32 v15, v39, 2.0, -v13
	ds_write2_b32 v20, v15, v13 offset1:2
	v_sub_f32_e32 v13, v19, v14
	v_fma_f32 v14, v19, 2.0, -v13
	ds_write2_b32 v21, v14, v13 offset1:2
	v_sub_f32_e32 v13, v24, v46
	v_fma_f32 v14, v24, 2.0, -v13
	ds_write2_b32 v9, v14, v13 offset1:2
	v_and_b32_e32 v9, 3, v28
	v_lshlrev_b32_e32 v13, 3, v9
	s_waitcnt lgkmcnt(0)
	s_barrier
	global_load_dwordx2 v[13:14], v13, s[12:13] offset:16
	ds_read2_b32 v[15:16], v25 offset0:48 offset1:224
	ds_read2_b32 v[19:20], v10 offset0:16 offset1:192
	s_movk_i32 s0, 0x1f8
	s_waitcnt vmcnt(0) lgkmcnt(1)
	v_mul_f32_e32 v17, v15, v14
	v_mul_f32_e32 v21, v16, v14
	v_fmac_f32_e32 v17, v7, v13
	v_fmac_f32_e32 v21, v8, v13
	v_mul_f32_e32 v7, v7, v14
	v_mul_f32_e32 v8, v8, v14
	v_fma_f32 v7, v15, v13, -v7
	v_fma_f32 v15, v16, v13, -v8
	s_waitcnt lgkmcnt(0)
	v_mul_f32_e32 v8, v19, v14
	v_mul_f32_e32 v16, v20, v14
	v_fmac_f32_e32 v8, v11, v13
	v_fmac_f32_e32 v16, v12, v13
	v_mul_f32_e32 v11, v11, v14
	v_mul_f32_e32 v12, v12, v14
	v_fma_f32 v19, v19, v13, -v11
	v_fma_f32 v20, v20, v13, -v12
	ds_read_b32 v11, v0 offset:6336
	ds_read_b32 v22, v18
	ds_read_b32 v23, v36
	;; [unrolled: 1-line block ×5, first 2 shown]
	s_waitcnt lgkmcnt(5)
	v_mul_f32_e32 v40, v11, v14
	v_mul_f32_e32 v14, v42, v14
	v_fmac_f32_e32 v40, v42, v13
	v_fma_f32 v13, v11, v13, -v14
	v_sub_f32_e32 v11, v26, v17
	v_and_or_b32 v17, v47, s0, v9
	v_fma_f32 v14, v26, 2.0, -v11
	v_lshl_add_u32 v17, v17, 2, 0
	s_movk_i32 s0, 0x3f8
	s_waitcnt lgkmcnt(0)
	s_barrier
	ds_write2_b32 v17, v14, v11 offset1:4
	v_sub_f32_e32 v11, v41, v21
	v_and_or_b32 v21, v48, s0, v9
	v_fma_f32 v14, v41, 2.0, -v11
	v_lshl_add_u32 v21, v21, 2, 0
	s_movk_i32 s0, 0x7f8
	ds_write2_b32 v21, v14, v11 offset1:4
	v_sub_f32_e32 v8, v38, v8
	v_and_or_b32 v14, v45, s0, v9
	v_fma_f32 v11, v38, 2.0, -v8
	v_lshl_add_u32 v14, v14, 2, 0
	ds_write2_b32 v14, v11, v8 offset1:4
	v_sub_f32_e32 v8, v27, v16
	v_and_or_b32 v16, v44, s0, v9
	v_fma_f32 v11, v27, 2.0, -v8
	v_lshl_add_u32 v16, v16, 2, 0
	ds_write2_b32 v16, v11, v8 offset1:4
	v_sub_f32_e32 v8, v37, v40
	v_and_or_b32 v9, v49, s0, v9
	v_sub_f32_e32 v26, v12, v7
	v_fma_f32 v11, v37, 2.0, -v8
	v_lshl_add_u32 v9, v9, 2, 0
	v_fma_f32 v27, v12, 2.0, -v26
	v_sub_f32_e32 v15, v39, v15
	ds_write2_b32 v9, v11, v8 offset1:4
	s_waitcnt lgkmcnt(0)
	s_barrier
	ds_read_b32 v37, v0
	ds_read_b32 v38, v18
	;; [unrolled: 1-line block ×5, first 2 shown]
	ds_read_b32 v43, v0 offset:6336
	ds_read2_b32 v[7:8], v25 offset0:48 offset1:224
	ds_read2_b32 v[11:12], v10 offset0:16 offset1:192
	s_waitcnt lgkmcnt(0)
	s_barrier
	ds_write2_b32 v17, v27, v26 offset1:4
	v_fma_f32 v17, v39, 2.0, -v15
	ds_write2_b32 v21, v17, v15 offset1:4
	v_sub_f32_e32 v15, v24, v19
	v_fma_f32 v17, v24, 2.0, -v15
	ds_write2_b32 v14, v17, v15 offset1:4
	v_sub_f32_e32 v14, v22, v20
	v_fma_f32 v15, v22, 2.0, -v14
	v_sub_f32_e32 v13, v23, v13
	ds_write2_b32 v16, v15, v14 offset1:4
	v_fma_f32 v14, v23, 2.0, -v13
	ds_write2_b32 v9, v14, v13 offset1:4
	v_and_b32_e32 v9, 7, v28
	v_lshlrev_b32_e32 v13, 3, v9
	s_waitcnt lgkmcnt(0)
	s_barrier
	global_load_dwordx2 v[13:14], v13, s[12:13] offset:48
	ds_read2_b32 v[15:16], v25 offset0:48 offset1:224
	ds_read2_b32 v[19:20], v10 offset0:16 offset1:192
	s_movk_i32 s0, 0x1f0
	s_waitcnt vmcnt(0) lgkmcnt(1)
	v_mul_f32_e32 v17, v15, v14
	v_mul_f32_e32 v21, v16, v14
	v_fmac_f32_e32 v17, v7, v13
	v_fmac_f32_e32 v21, v8, v13
	v_mul_f32_e32 v7, v7, v14
	v_mul_f32_e32 v8, v8, v14
	v_fma_f32 v7, v15, v13, -v7
	v_fma_f32 v8, v16, v13, -v8
	s_waitcnt lgkmcnt(0)
	v_mul_f32_e32 v15, v19, v14
	v_mul_f32_e32 v16, v20, v14
	v_fmac_f32_e32 v15, v11, v13
	v_fmac_f32_e32 v16, v12, v13
	v_mul_f32_e32 v11, v11, v14
	v_mul_f32_e32 v12, v12, v14
	v_fma_f32 v19, v19, v13, -v11
	v_fma_f32 v22, v20, v13, -v12
	ds_read_b32 v11, v0 offset:6336
	ds_read_b32 v23, v18
	ds_read_b32 v24, v36
	;; [unrolled: 1-line block ×5, first 2 shown]
	s_waitcnt lgkmcnt(5)
	v_mul_f32_e32 v20, v11, v14
	v_mul_f32_e32 v14, v43, v14
	v_fma_f32 v14, v11, v13, -v14
	v_sub_f32_e32 v11, v37, v17
	v_and_or_b32 v17, v47, s0, v9
	v_fmac_f32_e32 v20, v43, v13
	v_fma_f32 v13, v37, 2.0, -v11
	v_lshl_add_u32 v17, v17, 2, 0
	s_movk_i32 s0, 0x3f0
	s_waitcnt lgkmcnt(0)
	s_barrier
	ds_write2_b32 v17, v13, v11 offset1:8
	v_sub_f32_e32 v11, v42, v21
	v_and_or_b32 v21, v48, s0, v9
	v_fma_f32 v13, v42, 2.0, -v11
	v_lshl_add_u32 v37, v21, 2, 0
	s_movk_i32 s0, 0x7f0
	ds_write2_b32 v37, v13, v11 offset1:8
	v_sub_f32_e32 v11, v41, v15
	v_and_or_b32 v15, v45, s0, v9
	v_fma_f32 v13, v41, 2.0, -v11
	v_lshl_add_u32 v15, v15, 2, 0
	ds_write2_b32 v15, v13, v11 offset1:8
	v_sub_f32_e32 v11, v38, v16
	v_and_or_b32 v16, v44, s0, v9
	v_fma_f32 v13, v38, 2.0, -v11
	v_lshl_add_u32 v16, v16, 2, 0
	ds_write2_b32 v16, v13, v11 offset1:8
	v_sub_f32_e32 v11, v40, v20
	v_and_or_b32 v9, v49, s0, v9
	v_sub_f32_e32 v7, v12, v7
	v_fma_f32 v13, v40, 2.0, -v11
	v_lshl_add_u32 v9, v9, 2, 0
	v_fma_f32 v38, v12, 2.0, -v7
	ds_write2_b32 v9, v13, v11 offset1:8
	s_waitcnt lgkmcnt(0)
	s_barrier
	ds_read_b32 v39, v0
	ds_read_b32 v40, v18
	;; [unrolled: 1-line block ×5, first 2 shown]
	ds_read_b32 v13, v0 offset:6336
	ds_read2_b32 v[20:21], v25 offset0:48 offset1:224
	ds_read2_b32 v[11:12], v10 offset0:16 offset1:192
	s_waitcnt lgkmcnt(0)
	s_barrier
	ds_write2_b32 v17, v38, v7 offset1:8
	v_sub_f32_e32 v7, v27, v8
	v_fma_f32 v8, v27, 2.0, -v7
	ds_write2_b32 v37, v8, v7 offset1:8
	v_sub_f32_e32 v7, v26, v19
	v_fma_f32 v8, v26, 2.0, -v7
	;; [unrolled: 3-line block ×4, first 2 shown]
	v_and_b32_e32 v19, 15, v28
	ds_write2_b32 v9, v8, v7 offset1:8
	v_lshlrev_b32_e32 v7, 3, v19
	s_waitcnt lgkmcnt(0)
	s_barrier
	global_load_dwordx2 v[22:23], v7, s[12:13] offset:112
	ds_read2_b32 v[24:25], v25 offset0:48 offset1:224
	ds_read2_b32 v[26:27], v10 offset0:16 offset1:192
	s_movk_i32 s0, 0x1e0
	s_waitcnt vmcnt(0) lgkmcnt(1)
	v_mul_f32_e32 v7, v24, v23
	v_fmac_f32_e32 v7, v20, v22
	v_mul_f32_e32 v9, v25, v23
	v_sub_f32_e32 v8, v39, v7
	v_fmac_f32_e32 v9, v21, v22
	s_waitcnt lgkmcnt(0)
	v_mul_f32_e32 v16, v27, v23
	v_fma_f32 v7, v39, 2.0, -v8
	v_sub_f32_e32 v15, v43, v9
	v_mul_f32_e32 v9, v26, v23
	v_fmac_f32_e32 v16, v12, v22
	ds_read_b32 v37, v18
	ds_read_b32 v36, v36
	ds_read_b32 v35, v35
	ds_read_b32 v38, v34
	ds_read_b32 v39, v0 offset:6336
	v_fmac_f32_e32 v9, v11, v22
	v_sub_f32_e32 v17, v40, v16
	v_sub_f32_e32 v10, v42, v9
	v_fma_f32 v16, v40, 2.0, -v17
	v_and_or_b32 v40, v47, s0, v19
	s_movk_i32 s0, 0x3e0
	v_fma_f32 v9, v42, 2.0, -v10
	v_and_or_b32 v42, v48, s0, v19
	s_movk_i32 s0, 0x7e0
	v_and_or_b32 v34, v45, s0, v19
	ds_read_b32 v45, v0
	s_waitcnt lgkmcnt(1)
	v_mul_f32_e32 v18, v39, v23
	v_fmac_f32_e32 v18, v13, v22
	v_and_or_b32 v44, v44, s0, v19
	v_and_or_b32 v19, v49, s0, v19
	v_sub_f32_e32 v18, v41, v18
	s_movk_i32 s0, 0xa0
	v_fma_f32 v14, v43, 2.0, -v15
	v_fma_f32 v41, v41, 2.0, -v18
	v_lshl_add_u32 v40, v40, 2, 0
	v_lshl_add_u32 v42, v42, 2, 0
	;; [unrolled: 1-line block ×5, first 2 shown]
	v_cmp_gt_u32_e64 s[0:1], s0, v28
	v_lshl_add_u32 v34, v28, 2, 0
	s_waitcnt lgkmcnt(0)
	s_barrier
	ds_write2_b32 v40, v7, v8 offset1:16
	ds_write2_b32 v42, v14, v15 offset1:16
	;; [unrolled: 1-line block ×5, first 2 shown]
	s_waitcnt lgkmcnt(0)
	s_barrier
	s_and_saveexec_b64 s[6:7], s[0:1]
	s_cbranch_execz .LBB0_15
; %bb.14:
	v_add_u32_e32 v9, 0x400, v0
	ds_read2_b32 v[14:15], v9 offset0:64 offset1:224
	v_add_u32_e32 v9, 0xa00, v0
	v_add_u32_e32 v16, 0xe00, v0
	;; [unrolled: 1-line block ×3, first 2 shown]
	ds_read2_b32 v[7:8], v0 offset1:160
	ds_read2_b32 v[9:10], v9 offset1:160
	ds_read2_b32 v[16:17], v16 offset0:64 offset1:224
	ds_read_b32 v41, v34 offset:5120
	ds_read2_b32 v[18:19], v18 offset0:32 offset1:192
.LBB0_15:
	s_or_b64 exec, exec, s[6:7]
	v_mul_f32_e32 v20, v20, v23
	v_mul_f32_e32 v12, v12, v23
	v_fma_f32 v20, v24, v22, -v20
	v_mul_f32_e32 v21, v21, v23
	v_mul_f32_e32 v11, v11, v23
	v_fma_f32 v24, v27, v22, -v12
	v_mul_f32_e32 v12, v13, v23
	v_fma_f32 v21, v25, v22, -v21
	v_fma_f32 v11, v26, v22, -v11
	;; [unrolled: 1-line block ×3, first 2 shown]
	v_sub_f32_e32 v13, v45, v20
	v_sub_f32_e32 v23, v38, v21
	;; [unrolled: 1-line block ×5, first 2 shown]
	v_fma_f32 v12, v45, 2.0, -v13
	v_fma_f32 v22, v38, 2.0, -v23
	;; [unrolled: 1-line block ×5, first 2 shown]
	s_waitcnt lgkmcnt(0)
	s_barrier
	ds_write2_b32 v40, v12, v13 offset1:16
	ds_write2_b32 v42, v22, v23 offset1:16
	;; [unrolled: 1-line block ×5, first 2 shown]
	s_waitcnt lgkmcnt(0)
	s_barrier
	s_and_saveexec_b64 s[6:7], s[0:1]
	s_cbranch_execz .LBB0_17
; %bb.16:
	v_add_u32_e32 v11, 0x400, v0
	ds_read2_b32 v[22:23], v11 offset0:64 offset1:224
	v_add_u32_e32 v11, 0xa00, v0
	ds_read2_b32 v[20:21], v11 offset1:160
	v_add_u32_e32 v11, 0xe00, v0
	ds_read2_b32 v[12:13], v0 offset1:160
	ds_read2_b32 v[24:25], v11 offset0:64 offset1:224
	ds_read_b32 v50, v34 offset:5120
	v_add_u32_e32 v11, 0x1600, v0
	ds_read2_b32 v[26:27], v11 offset0:32 offset1:192
.LBB0_17:
	s_or_b64 exec, exec, s[6:7]
	v_and_b32_e32 v34, 31, v28
	v_mul_u32_u24_e32 v11, 10, v34
	v_lshlrev_b32_e32 v11, 3, v11
	global_load_dwordx4 v[37:40], v11, s[12:13] offset:240
	global_load_dwordx4 v[51:54], v11, s[12:13] offset:256
	;; [unrolled: 1-line block ×5, first 2 shown]
	v_sub_u32_e32 v48, 0, v32
	v_sub_u32_e32 v11, 0, v33
	;; [unrolled: 1-line block ×3, first 2 shown]
	s_waitcnt vmcnt(0) lgkmcnt(0)
	s_barrier
	v_mul_f32_e32 v45, v13, v38
	v_mul_f32_e32 v36, v8, v38
	;; [unrolled: 1-line block ×11, first 2 shown]
	v_fmac_f32_e32 v45, v8, v37
	v_fma_f32 v47, v13, v37, -v36
	v_fmac_f32_e32 v42, v14, v39
	v_fma_f32 v43, v22, v39, -v40
	v_mul_f32_e32 v8, v16, v58
	v_mul_f32_e32 v36, v25, v60
	;; [unrolled: 1-line block ×4, first 2 shown]
	v_fmac_f32_e32 v38, v15, v51
	v_mul_f32_e32 v14, v41, v62
	v_mul_f32_e32 v44, v26, v64
	v_fma_f32 v40, v23, v51, -v49
	v_mul_f32_e32 v15, v18, v64
	v_mul_f32_e32 v49, v27, v66
	v_fmac_f32_e32 v35, v9, v53
	v_mul_f32_e32 v9, v19, v66
	v_fma_f32 v37, v20, v53, -v52
	v_fmac_f32_e32 v32, v10, v55
	v_fma_f32 v20, v21, v55, -v54
	v_fmac_f32_e32 v33, v16, v57
	;; [unrolled: 2-line block ×6, first 2 shown]
	v_fma_f32 v27, v27, v65, -v9
	v_lshrrev_b32_e32 v17, 5, v28
	s_and_saveexec_b64 s[6:7], s[0:1]
	s_cbranch_execz .LBB0_19
; %bb.18:
	v_sub_f32_e32 v9, v47, v27
	v_add_f32_e32 v8, v45, v49
	v_mul_f32_e32 v10, 0xbe903f40, v9
	s_mov_b32 s8, 0xbf75a155
	v_sub_f32_e32 v15, v43, v26
	v_fma_f32 v13, v8, s8, -v10
	v_add_f32_e32 v14, v42, v44
	v_mul_f32_e32 v16, 0x3f0a6770, v15
	s_mov_b32 s9, 0x3f575c64
	v_add_f32_e32 v13, v7, v13
	v_fma_f32 v18, v14, s9, -v16
	v_sub_f32_e32 v19, v40, v41
	v_add_f32_e32 v13, v18, v13
	v_add_f32_e32 v18, v38, v39
	v_mul_f32_e32 v22, 0xbf4178ce, v19
	s_mov_b32 s14, 0xbf27a4f4
	v_fma_f32 v23, v18, s14, -v22
	v_sub_f32_e32 v24, v37, v25
	v_fmac_f32_e32 v10, 0xbf75a155, v8
	v_add_f32_e32 v13, v23, v13
	v_add_f32_e32 v23, v35, v36
	v_mul_f32_e32 v50, 0x3f68dda4, v24
	s_mov_b32 s15, 0x3ed4b147
	v_add_f32_e32 v10, v7, v10
	v_fmac_f32_e32 v16, 0x3f575c64, v14
	v_fma_f32 v51, v23, s15, -v50
	v_sub_f32_e32 v52, v20, v21
	v_add_f32_e32 v10, v16, v10
	v_fmac_f32_e32 v22, 0xbf27a4f4, v18
	v_add_f32_e32 v13, v51, v13
	v_add_f32_e32 v51, v32, v33
	v_mul_f32_e32 v53, 0xbf7d64f0, v52
	s_mov_b32 s16, 0xbe11bafb
	v_add_f32_e32 v10, v22, v10
	v_fmac_f32_e32 v50, 0x3ed4b147, v23
	v_mul_f32_e32 v16, 0xbf4178ce, v9
	v_fma_f32 v54, v51, s16, -v53
	v_add_f32_e32 v10, v50, v10
	v_fmac_f32_e32 v53, 0xbe11bafb, v51
	v_fma_f32 v22, v8, s14, -v16
	v_mul_f32_e32 v50, 0x3f7d64f0, v15
	v_add_f32_e32 v10, v53, v10
	v_add_f32_e32 v22, v7, v22
	v_fma_f32 v53, v14, s16, -v50
	v_add_f32_e32 v22, v53, v22
	v_mul_f32_e32 v53, 0xbf0a6770, v19
	v_add_f32_e32 v13, v54, v13
	v_fma_f32 v54, v18, s9, -v53
	v_fmac_f32_e32 v16, 0xbf27a4f4, v8
	v_add_f32_e32 v22, v54, v22
	v_mul_f32_e32 v54, 0xbe903f40, v24
	v_add_f32_e32 v16, v7, v16
	v_fmac_f32_e32 v50, 0xbe11bafb, v14
	v_fma_f32 v55, v23, s8, -v54
	v_add_f32_e32 v16, v50, v16
	v_fmac_f32_e32 v53, 0x3f575c64, v18
	v_add_f32_e32 v22, v55, v22
	v_mul_f32_e32 v55, 0x3f68dda4, v52
	v_add_f32_e32 v16, v53, v16
	v_fmac_f32_e32 v54, 0xbf75a155, v23
	v_mul_f32_e32 v50, 0xbf7d64f0, v9
	v_fma_f32 v56, v51, s15, -v55
	v_add_f32_e32 v16, v54, v16
	v_fmac_f32_e32 v55, 0x3ed4b147, v51
	v_fma_f32 v53, v8, s16, -v50
	v_mul_f32_e32 v54, 0x3e903f40, v15
	v_add_f32_e32 v16, v55, v16
	v_add_f32_e32 v53, v7, v53
	v_fma_f32 v55, v14, s8, -v54
	v_add_f32_e32 v53, v55, v53
	v_mul_f32_e32 v55, 0x3f68dda4, v19
	v_add_f32_e32 v22, v56, v22
	v_fma_f32 v56, v18, s15, -v55
	v_fmac_f32_e32 v50, 0xbe11bafb, v8
	v_add_f32_e32 v53, v56, v53
	v_mul_f32_e32 v56, 0xbf0a6770, v24
	v_add_f32_e32 v50, v7, v50
	v_fmac_f32_e32 v54, 0xbf75a155, v14
	v_fma_f32 v57, v23, s9, -v56
	v_add_f32_e32 v50, v54, v50
	v_fmac_f32_e32 v55, 0x3ed4b147, v18
	v_add_f32_e32 v53, v57, v53
	v_mul_f32_e32 v57, 0xbf4178ce, v52
	v_add_f32_e32 v50, v55, v50
	v_fmac_f32_e32 v56, 0x3f575c64, v23
	v_mul_f32_e32 v54, 0xbf68dda4, v9
	v_fma_f32 v58, v51, s14, -v57
	v_add_f32_e32 v50, v56, v50
	v_fmac_f32_e32 v57, 0xbf27a4f4, v51
	v_fma_f32 v55, v8, s15, -v54
	v_mul_f32_e32 v56, 0xbf4178ce, v15
	v_fmac_f32_e32 v54, 0x3ed4b147, v8
	v_add_f32_e32 v50, v57, v50
	v_fma_f32 v57, v14, s14, -v56
	v_add_f32_e32 v54, v7, v54
	v_fmac_f32_e32 v56, 0xbf27a4f4, v14
	v_mul_f32_e32 v9, 0xbf0a6770, v9
	v_add_f32_e32 v54, v56, v54
	v_fma_f32 v56, v8, s9, -v9
	v_fmac_f32_e32 v9, 0x3f575c64, v8
	v_add_f32_e32 v55, v7, v55
	v_add_f32_e32 v56, v7, v56
	;; [unrolled: 1-line block ×7, first 2 shown]
	v_mul_f32_e32 v57, 0x3e903f40, v19
	v_add_f32_e32 v7, v7, v35
	v_add_f32_e32 v53, v58, v53
	v_fma_f32 v58, v18, s8, -v57
	v_fmac_f32_e32 v57, 0xbf75a155, v18
	v_mul_f32_e32 v15, 0xbf68dda4, v15
	v_add_f32_e32 v7, v7, v32
	v_add_f32_e32 v55, v58, v55
	v_mul_f32_e32 v58, 0x3f7d64f0, v24
	v_add_f32_e32 v54, v57, v54
	v_fma_f32 v57, v14, s15, -v15
	v_mul_f32_e32 v19, 0xbf7d64f0, v19
	v_fmac_f32_e32 v15, 0x3ed4b147, v14
	v_add_f32_e32 v7, v7, v33
	v_fma_f32 v59, v23, s16, -v58
	v_add_f32_e32 v56, v57, v56
	v_fma_f32 v57, v18, s16, -v19
	v_mul_f32_e32 v24, 0xbf4178ce, v24
	v_add_f32_e32 v8, v15, v8
	v_fmac_f32_e32 v19, 0xbe11bafb, v18
	v_add_f32_e32 v7, v7, v36
	v_add_f32_e32 v55, v59, v55
	v_mul_f32_e32 v59, 0x3f0a6770, v52
	v_add_f32_e32 v56, v57, v56
	v_fma_f32 v57, v23, s14, -v24
	v_mul_f32_e32 v52, 0xbe903f40, v52
	v_add_f32_e32 v8, v19, v8
	v_fmac_f32_e32 v24, 0xbf27a4f4, v23
	v_add_f32_e32 v7, v7, v39
	v_mul_u32_u24_e32 v9, 0x160, v17
	v_fmac_f32_e32 v58, 0xbe11bafb, v23
	v_add_f32_e32 v56, v57, v56
	v_fma_f32 v57, v51, s8, -v52
	v_add_f32_e32 v8, v24, v8
	v_fmac_f32_e32 v52, 0xbf75a155, v51
	v_add_f32_e32 v7, v7, v44
	v_or_b32_e32 v9, v9, v34
	v_fma_f32 v60, v51, s9, -v59
	v_add_f32_e32 v54, v58, v54
	v_fmac_f32_e32 v59, 0x3f575c64, v51
	v_add_f32_e32 v8, v52, v8
	v_add_f32_e32 v7, v7, v49
	v_lshl_add_u32 v9, v9, 2, 0
	v_add_f32_e32 v55, v60, v55
	v_add_f32_e32 v54, v59, v54
	ds_write2_b32 v9, v7, v8 offset1:32
	ds_write2_b32 v9, v54, v50 offset0:64 offset1:96
	ds_write2_b32 v9, v16, v10 offset0:128 offset1:160
	;; [unrolled: 1-line block ×3, first 2 shown]
	v_add_u32_e32 v7, 0x400, v9
	v_add_f32_e32 v56, v57, v56
	ds_write2_b32 v7, v53, v55 offset1:32
	ds_write_b32 v9, v56 offset:1280
.LBB0_19:
	s_or_b64 exec, exec, s[6:7]
	v_add_u32_e32 v7, 0xd00, v0
	s_waitcnt lgkmcnt(0)
	s_barrier
	v_add_u32_e32 v22, v31, v11
	ds_read2_b32 v[8:9], v7 offset0:48 offset1:224
	v_add_u32_e32 v7, 0x1300, v0
	v_add_u32_e32 v23, v30, v48
	ds_read2_b32 v[10:11], v7 offset0:16 offset1:192
	v_add_u32_e32 v24, v29, v46
	ds_read_b32 v14, v22
	ds_read_b32 v16, v24
	ds_read_b32 v13, v0
	ds_read_b32 v18, v0 offset:2112
	ds_read_b32 v15, v23
	ds_read_b32 v19, v0 offset:6336
	s_waitcnt lgkmcnt(0)
	s_barrier
	s_and_saveexec_b64 s[6:7], s[0:1]
	s_cbranch_execz .LBB0_21
; %bb.20:
	v_add_f32_e32 v7, v12, v47
	v_add_f32_e32 v7, v7, v43
	;; [unrolled: 1-line block ×11, first 2 shown]
	v_sub_f32_e32 v29, v45, v49
	v_mul_f32_e32 v30, 0x3f575c64, v27
	v_mul_f32_e32 v45, 0x3ed4b147, v27
	;; [unrolled: 1-line block ×5, first 2 shown]
	v_mov_b32_e32 v31, v30
	v_mov_b32_e32 v46, v45
	;; [unrolled: 1-line block ×5, first 2 shown]
	v_fmac_f32_e32 v31, 0x3f0a6770, v29
	v_fmac_f32_e32 v30, 0xbf0a6770, v29
	v_fmac_f32_e32 v46, 0x3f68dda4, v29
	v_fmac_f32_e32 v45, 0xbf68dda4, v29
	v_fmac_f32_e32 v48, 0x3f7d64f0, v29
	v_fmac_f32_e32 v47, 0xbf7d64f0, v29
	v_fmac_f32_e32 v50, 0x3f4178ce, v29
	v_fmac_f32_e32 v49, 0xbf4178ce, v29
	v_fmac_f32_e32 v51, 0x3e903f40, v29
	v_fmac_f32_e32 v27, 0xbe903f40, v29
	v_add_f32_e32 v26, v43, v26
	v_add_f32_e32 v31, v12, v31
	;; [unrolled: 1-line block ×11, first 2 shown]
	v_sub_f32_e32 v27, v42, v44
	v_mul_f32_e32 v29, 0x3ed4b147, v26
	v_mov_b32_e32 v42, v29
	v_fmac_f32_e32 v29, 0xbf68dda4, v27
	v_fmac_f32_e32 v42, 0x3f68dda4, v27
	v_add_f32_e32 v29, v29, v30
	v_mul_f32_e32 v30, 0xbf27a4f4, v26
	v_add_f32_e32 v31, v42, v31
	v_mov_b32_e32 v42, v30
	v_fmac_f32_e32 v30, 0xbf4178ce, v27
	v_mul_f32_e32 v43, 0xbf75a155, v26
	v_add_f32_e32 v30, v30, v45
	v_mov_b32_e32 v44, v43
	v_fmac_f32_e32 v43, 0x3e903f40, v27
	v_mul_f32_e32 v45, 0xbe11bafb, v26
	v_mul_f32_e32 v26, 0x3f575c64, v26
	v_fmac_f32_e32 v42, 0x3f4178ce, v27
	v_add_f32_e32 v43, v43, v47
	v_mov_b32_e32 v47, v26
	v_fmac_f32_e32 v26, 0x3f0a6770, v27
	v_add_f32_e32 v42, v42, v46
	v_mov_b32_e32 v46, v45
	v_add_f32_e32 v12, v26, v12
	v_add_f32_e32 v26, v40, v41
	v_fmac_f32_e32 v44, 0xbe903f40, v27
	v_fmac_f32_e32 v46, 0xbf7d64f0, v27
	;; [unrolled: 1-line block ×4, first 2 shown]
	v_sub_f32_e32 v27, v38, v39
	v_mul_f32_e32 v38, 0xbe11bafb, v26
	v_mov_b32_e32 v39, v38
	v_fmac_f32_e32 v38, 0xbf7d64f0, v27
	v_fmac_f32_e32 v39, 0x3f7d64f0, v27
	v_add_f32_e32 v29, v38, v29
	v_mul_f32_e32 v38, 0xbf75a155, v26
	v_add_f32_e32 v31, v39, v31
	v_mov_b32_e32 v39, v38
	v_fmac_f32_e32 v38, 0x3e903f40, v27
	v_add_f32_e32 v30, v38, v30
	v_mul_f32_e32 v38, 0x3ed4b147, v26
	v_fmac_f32_e32 v39, 0xbe903f40, v27
	v_mov_b32_e32 v40, v38
	v_fmac_f32_e32 v38, 0x3f68dda4, v27
	v_mul_f32_e32 v41, 0x3f575c64, v26
	v_mul_f32_e32 v26, 0xbf27a4f4, v26
	v_add_f32_e32 v39, v39, v42
	v_add_f32_e32 v38, v38, v43
	v_mov_b32_e32 v42, v41
	v_mov_b32_e32 v43, v26
	v_fmac_f32_e32 v26, 0xbf4178ce, v27
	v_add_f32_e32 v25, v37, v25
	v_fmac_f32_e32 v40, 0xbf68dda4, v27
	v_fmac_f32_e32 v42, 0x3f0a6770, v27
	;; [unrolled: 1-line block ×4, first 2 shown]
	v_add_f32_e32 v12, v26, v12
	v_sub_f32_e32 v26, v35, v36
	v_mul_f32_e32 v27, 0xbf27a4f4, v25
	v_mov_b32_e32 v35, v27
	v_fmac_f32_e32 v27, 0xbf4178ce, v26
	v_fmac_f32_e32 v35, 0x3f4178ce, v26
	v_add_f32_e32 v27, v27, v29
	v_mul_f32_e32 v29, 0xbe11bafb, v25
	v_add_f32_e32 v31, v35, v31
	v_mov_b32_e32 v35, v29
	v_fmac_f32_e32 v29, 0x3f7d64f0, v26
	v_fmac_f32_e32 v35, 0xbf7d64f0, v26
	v_add_f32_e32 v29, v29, v30
	v_mul_f32_e32 v30, 0x3f575c64, v25
	v_mul_f32_e32 v37, 0xbf75a155, v25
	;; [unrolled: 1-line block ×3, first 2 shown]
	v_add_f32_e32 v35, v35, v39
	v_mov_b32_e32 v36, v30
	v_fmac_f32_e32 v30, 0xbf0a6770, v26
	v_mov_b32_e32 v39, v25
	v_fmac_f32_e32 v25, 0x3f68dda4, v26
	v_add_f32_e32 v20, v20, v21
	v_add_f32_e32 v30, v30, v38
	v_mov_b32_e32 v38, v37
	v_add_f32_e32 v12, v25, v12
	v_sub_f32_e32 v21, v32, v33
	v_mul_f32_e32 v25, 0xbf75a155, v20
	v_fmac_f32_e32 v36, 0x3f0a6770, v26
	v_fmac_f32_e32 v38, 0x3e903f40, v26
	;; [unrolled: 1-line block ×4, first 2 shown]
	v_mov_b32_e32 v26, v25
	v_fmac_f32_e32 v25, 0xbe903f40, v21
	v_fmac_f32_e32 v26, 0x3e903f40, v21
	v_add_f32_e32 v25, v25, v27
	v_mul_f32_e32 v27, 0x3f575c64, v20
	v_add_f32_e32 v26, v26, v31
	v_mov_b32_e32 v31, v27
	v_fmac_f32_e32 v27, 0x3f0a6770, v21
	v_add_f32_e32 v27, v27, v29
	v_mul_f32_e32 v29, 0xbf27a4f4, v20
	v_mov_b32_e32 v32, v29
	v_fmac_f32_e32 v29, 0xbf4178ce, v21
	v_add_f32_e32 v44, v44, v48
	v_add_f32_e32 v46, v46, v50
	;; [unrolled: 1-line block ×4, first 2 shown]
	v_fmac_f32_e32 v31, 0xbf0a6770, v21
	v_add_f32_e32 v29, v29, v30
	v_mul_f32_e32 v30, 0x3ed4b147, v20
	v_mul_f32_e32 v20, 0xbe11bafb, v20
	v_mul_u32_u24_e32 v17, 0x160, v17
	v_add_f32_e32 v40, v40, v44
	v_add_f32_e32 v42, v42, v46
	v_add_f32_e32 v41, v41, v45
	v_add_f32_e32 v43, v43, v47
	v_add_f32_e32 v31, v31, v35
	v_mov_b32_e32 v33, v30
	v_mov_b32_e32 v35, v20
	v_or_b32_e32 v17, v17, v34
	v_add_f32_e32 v36, v36, v40
	v_add_f32_e32 v38, v38, v42
	;; [unrolled: 1-line block ×4, first 2 shown]
	v_fmac_f32_e32 v32, 0x3f4178ce, v21
	v_fmac_f32_e32 v33, 0xbf68dda4, v21
	;; [unrolled: 1-line block ×5, first 2 shown]
	v_lshl_add_u32 v17, v17, 2, 0
	v_add_f32_e32 v32, v32, v36
	v_add_f32_e32 v33, v33, v38
	;; [unrolled: 1-line block ×5, first 2 shown]
	ds_write2_b32 v17, v7, v26 offset1:32
	ds_write2_b32 v17, v31, v32 offset0:64 offset1:96
	ds_write2_b32 v17, v33, v35 offset0:128 offset1:160
	;; [unrolled: 1-line block ×3, first 2 shown]
	v_add_u32_e32 v7, 0x400, v17
	ds_write2_b32 v7, v29, v27 offset1:32
	ds_write_b32 v17, v25 offset:1280
.LBB0_21:
	s_or_b64 exec, exec, s[6:7]
	s_waitcnt lgkmcnt(0)
	s_barrier
	s_and_saveexec_b64 s[0:1], vcc
	s_cbranch_execz .LBB0_23
; %bb.22:
	v_mov_b32_e32 v7, 0
	v_lshlrev_b64 v[20:21], 3, v[6:7]
	v_mov_b32_e32 v12, s13
	v_add_co_u32_e32 v20, vcc, s12, v20
	v_addc_co_u32_e32 v21, vcc, v12, v21, vcc
	global_load_dwordx4 v[29:32], v[20:21], off offset:2800
	global_load_dwordx4 v[33:36], v[20:21], off offset:2816
	v_mov_b32_e32 v6, v7
	v_mul_lo_u32 v17, s5, v3
	v_mul_lo_u32 v27, s4, v4
	v_mad_u64_u32 v[25:26], s[0:1], s4, v3, 0
	v_lshlrev_b64 v[3:4], 3, v[5:6]
	v_add_u32_e32 v39, 0xd00, v0
	v_add_co_u32_e32 v37, vcc, s12, v3
	v_addc_co_u32_e32 v38, vcc, v12, v4, vcc
	v_add_u32_e32 v40, 0x1300, v0
	ds_read_b32 v41, v0 offset:6336
	ds_read_b32 v42, v23
	ds_read_b32 v24, v24
	;; [unrolled: 1-line block ×3, first 2 shown]
	ds_read_b32 v44, v0 offset:2112
	ds_read_b32 v0, v0
	global_load_dwordx4 v[3:6], v[37:38], off offset:2816
	global_load_dwordx4 v[20:23], v[37:38], off offset:2800
	ds_read2_b32 v[37:38], v39 offset0:48 offset1:224
	ds_read2_b32 v[39:40], v40 offset0:16 offset1:192
	v_add3_u32 v26, v26, v27, v17
	s_mov_b32 s4, 0xba2e8ba3
	s_waitcnt vmcnt(3)
	v_mul_f32_e32 v7, v8, v32
	v_mul_f32_e32 v12, v18, v30
	s_waitcnt vmcnt(2)
	v_mul_f32_e32 v17, v10, v34
	v_mul_f32_e32 v27, v19, v36
	s_waitcnt lgkmcnt(0)
	v_mul_f32_e32 v46, v39, v34
	v_mul_f32_e32 v47, v44, v30
	v_fma_f32 v30, v37, v31, -v7
	v_fma_f32 v7, v44, v29, -v12
	;; [unrolled: 1-line block ×4, first 2 shown]
	v_mul_f32_e32 v45, v37, v32
	v_mul_f32_e32 v36, v41, v36
	v_fmac_f32_e32 v46, v10, v33
	v_sub_f32_e32 v32, v7, v30
	v_sub_f32_e32 v33, v27, v12
	v_add_f32_e32 v49, v7, v24
	v_fmac_f32_e32 v45, v8, v31
	v_fmac_f32_e32 v47, v18, v29
	;; [unrolled: 1-line block ×3, first 2 shown]
	v_sub_f32_e32 v8, v30, v7
	v_sub_f32_e32 v10, v12, v27
	v_add_f32_e32 v17, v7, v27
	v_add_f32_e32 v51, v32, v33
	;; [unrolled: 1-line block ×3, first 2 shown]
	v_sub_f32_e32 v18, v45, v47
	v_sub_f32_e32 v29, v46, v36
	;; [unrolled: 1-line block ×3, first 2 shown]
	v_add_f32_e32 v34, v30, v12
	v_add_f32_e32 v48, v45, v46
	;; [unrolled: 1-line block ×3, first 2 shown]
	v_fma_f32 v8, -0.5, v17, v24
	v_add_f32_e32 v12, v12, v33
	v_sub_f32_e32 v19, v45, v46
	v_add_f32_e32 v31, v47, v36
	v_add_f32_e32 v50, v18, v29
	v_fma_f32 v18, -0.5, v34, v24
	v_fma_f32 v17, -0.5, v48, v16
	v_mov_b32_e32 v30, v8
	v_add_f32_e32 v34, v27, v12
	v_add_f32_e32 v12, v16, v47
	v_sub_f32_e32 v35, v47, v36
	v_sub_f32_e32 v37, v7, v27
	v_fma_f32 v7, -0.5, v31, v16
	v_mov_b32_e32 v31, v17
	v_fmac_f32_e32 v30, 0x3f737871, v19
	v_add_f32_e32 v12, v45, v12
	v_fmac_f32_e32 v8, 0xbf737871, v19
	v_sub_f32_e32 v41, v47, v45
	v_sub_f32_e32 v44, v36, v46
	v_fmac_f32_e32 v31, 0xbf737871, v37
	v_fmac_f32_e32 v30, 0xbf167918, v35
	v_add_f32_e32 v12, v12, v46
	v_fmac_f32_e32 v8, 0x3f167918, v35
	v_fmac_f32_e32 v17, 0x3f737871, v37
	v_add_f32_e32 v24, v41, v44
	v_mov_b32_e32 v32, v18
	v_fmac_f32_e32 v31, 0xbf167918, v39
	v_fmac_f32_e32 v30, 0x3e9e377a, v10
	v_add_f32_e32 v33, v12, v36
	v_fmac_f32_e32 v8, 0x3e9e377a, v10
	v_fmac_f32_e32 v17, 0x3f167918, v39
	s_waitcnt vmcnt(0)
	v_mul_f32_e32 v10, v15, v21
	v_mul_f32_e32 v12, v11, v6
	v_fmac_f32_e32 v32, 0x3f737871, v35
	v_fmac_f32_e32 v31, 0x3e9e377a, v24
	v_fmac_f32_e32 v18, 0xbf737871, v35
	v_fmac_f32_e32 v17, 0x3e9e377a, v24
	v_fma_f32 v16, v42, v20, -v10
	v_mul_f32_e32 v10, v14, v23
	v_fma_f32 v24, v40, v5, -v12
	v_mul_f32_e32 v12, v9, v4
	v_fmac_f32_e32 v32, 0x3f167918, v19
	v_fmac_f32_e32 v18, 0xbf167918, v19
	v_fma_f32 v19, v43, v22, -v10
	v_fma_f32 v27, v38, v3, -v12
	v_sub_f32_e32 v10, v16, v19
	v_sub_f32_e32 v12, v24, v27
	v_mul_f32_e32 v6, v40, v6
	v_mov_b32_e32 v29, v7
	v_add_f32_e32 v35, v10, v12
	v_add_f32_e32 v10, v19, v27
	v_mul_f32_e32 v21, v42, v21
	v_fmac_f32_e32 v6, v11, v5
	v_sub_f32_e32 v11, v19, v16
	v_sub_f32_e32 v12, v27, v24
	v_fmac_f32_e32 v29, 0xbf737871, v39
	v_fmac_f32_e32 v7, 0x3f737871, v39
	v_fma_f32 v10, -0.5, v10, v0
	v_fmac_f32_e32 v21, v15, v20
	v_mul_f32_e32 v23, v43, v23
	v_mul_f32_e32 v36, v38, v4
	v_add_f32_e32 v39, v11, v12
	v_add_f32_e32 v11, v16, v24
	v_sub_f32_e32 v20, v21, v6
	v_mov_b32_e32 v5, v10
	v_fmac_f32_e32 v23, v14, v22
	v_fmac_f32_e32 v36, v9, v3
	v_fma_f32 v12, -0.5, v11, v0
	v_fmac_f32_e32 v5, 0xbf737871, v20
	v_sub_f32_e32 v3, v23, v36
	v_mov_b32_e32 v15, v12
	v_fmac_f32_e32 v10, 0x3f737871, v20
	v_fmac_f32_e32 v5, 0xbf167918, v3
	;; [unrolled: 1-line block ×5, first 2 shown]
	v_mul_hi_u32 v3, v28, s4
	v_sub_f32_e32 v4, v21, v23
	v_sub_f32_e32 v9, v6, v36
	v_fmac_f32_e32 v29, 0x3f167918, v37
	v_lshrrev_b32_e32 v3, 8, v3
	v_mul_u32_u24_e32 v3, 0x160, v3
	v_fmac_f32_e32 v7, 0xbf167918, v37
	v_add_f32_e32 v22, v4, v9
	v_add_f32_e32 v4, v23, v36
	v_sub_f32_e32 v37, v16, v24
	v_add_f32_e32 v0, v16, v0
	v_sub_u32_e32 v16, v28, v3
	v_fma_f32 v9, -0.5, v4, v13
	v_sub_f32_e32 v38, v19, v27
	v_fmac_f32_e32 v15, 0xbf167918, v20
	v_fmac_f32_e32 v12, 0x3f167918, v20
	v_add_f32_e32 v0, v19, v0
	v_mad_u64_u32 v[19:20], s[0:1], s2, v16, 0
	v_mov_b32_e32 v4, v9
	v_fmac_f32_e32 v4, 0x3f737871, v37
	v_fmac_f32_e32 v9, 0xbf737871, v37
	;; [unrolled: 1-line block ×4, first 2 shown]
	v_add_f32_e32 v0, v27, v0
	v_fmac_f32_e32 v4, 0x3e9e377a, v22
	v_sub_f32_e32 v11, v23, v21
	v_sub_f32_e32 v14, v36, v6
	v_fmac_f32_e32 v9, 0x3e9e377a, v22
	v_add_f32_e32 v22, v24, v0
	v_add_f32_e32 v3, v13, v21
	v_mov_b32_e32 v0, v20
	v_add_f32_e32 v40, v11, v14
	v_add_f32_e32 v11, v21, v6
	v_mad_u64_u32 v[20:21], s[0:1], s3, v16, v[0:1]
	v_add_f32_e32 v0, v3, v23
	v_lshlrev_b64 v[23:24], 3, v[25:26]
	v_add_f32_e32 v0, v0, v36
	v_add_f32_e32 v21, v6, v0
	v_mov_b32_e32 v0, s11
	v_add_co_u32_e32 v6, vcc, s10, v23
	v_add_u32_e32 v23, 0x160, v16
	v_fma_f32 v11, -0.5, v11, v13
	v_addc_co_u32_e32 v13, vcc, v0, v24, vcc
	v_lshlrev_b64 v[0:1], 3, v[1:2]
	v_mad_u64_u32 v[2:3], s[0:1], s2, v23, 0
	v_add_co_u32_e32 v6, vcc, v6, v0
	v_addc_co_u32_e32 v13, vcc, v13, v1, vcc
	v_lshlrev_b64 v[0:1], 3, v[19:20]
	v_mad_u64_u32 v[19:20], s[0:1], s3, v23, v[3:4]
	v_add_co_u32_e32 v0, vcc, v6, v0
	v_addc_co_u32_e32 v1, vcc, v13, v1, vcc
	v_mov_b32_e32 v3, v19
	v_add_u32_e32 v19, 0x2c0, v16
	global_store_dwordx2 v[0:1], v[21:22], off
	v_lshlrev_b64 v[0:1], 3, v[2:3]
	v_mad_u64_u32 v[2:3], s[0:1], s2, v19, 0
	v_add_u32_e32 v22, 0x420, v16
	v_add_co_u32_e32 v0, vcc, v6, v0
	v_mad_u64_u32 v[19:20], s[0:1], s3, v19, v[3:4]
	v_mad_u64_u32 v[20:21], s[0:1], s2, v22, 0
	v_fmac_f32_e32 v10, 0x3e9e377a, v35
	v_addc_co_u32_e32 v1, vcc, v13, v1, vcc
	v_mov_b32_e32 v3, v19
	global_store_dwordx2 v[0:1], v[9:10], off
	v_lshlrev_b64 v[0:1], 3, v[2:3]
	v_mov_b32_e32 v2, v21
	v_mov_b32_e32 v14, v11
	v_fmac_f32_e32 v11, 0x3f737871, v38
	v_mad_u64_u32 v[2:3], s[0:1], s3, v22, v[2:3]
	v_fmac_f32_e32 v11, 0xbf167918, v37
	v_add_co_u32_e32 v0, vcc, v6, v0
	v_fmac_f32_e32 v12, 0x3e9e377a, v39
	v_fmac_f32_e32 v11, 0x3e9e377a, v40
	v_addc_co_u32_e32 v1, vcc, v13, v1, vcc
	global_store_dwordx2 v[0:1], v[11:12], off
	v_add_u32_e32 v9, 0x580, v16
	v_add_u32_e32 v11, 0xb0, v28
	v_mov_b32_e32 v21, v2
	v_mad_u64_u32 v[2:3], s[0:1], s2, v9, 0
	v_mul_hi_u32 v12, v11, s4
	v_lshlrev_b64 v[0:1], 3, v[20:21]
	v_mad_u64_u32 v[9:10], s[0:1], s3, v9, v[3:4]
	v_lshrrev_b32_e32 v3, 8, v12
	v_mul_u32_u24_e32 v10, 0x160, v3
	v_sub_u32_e32 v10, v11, v10
	s_movk_i32 s0, 0x6e0
	v_mad_u32_u24 v12, v3, s0, v10
	v_mad_u64_u32 v[10:11], s[0:1], s2, v12, 0
	v_fmac_f32_e32 v14, 0xbf737871, v38
	v_fmac_f32_e32 v14, 0x3f167918, v37
	v_add_co_u32_e32 v0, vcc, v6, v0
	v_fmac_f32_e32 v15, 0x3e9e377a, v39
	v_fmac_f32_e32 v14, 0x3e9e377a, v40
	v_addc_co_u32_e32 v1, vcc, v13, v1, vcc
	v_mov_b32_e32 v3, v9
	global_store_dwordx2 v[0:1], v[14:15], off
	v_lshlrev_b64 v[0:1], 3, v[2:3]
	v_mov_b32_e32 v2, v11
	v_mad_u64_u32 v[2:3], s[0:1], s3, v12, v[2:3]
	v_add_co_u32_e32 v0, vcc, v6, v0
	v_fmac_f32_e32 v5, 0x3e9e377a, v35
	v_addc_co_u32_e32 v1, vcc, v13, v1, vcc
	global_store_dwordx2 v[0:1], v[4:5], off
	v_add_u32_e32 v4, 0x160, v12
	v_mov_b32_e32 v11, v2
	v_mad_u64_u32 v[2:3], s[0:1], s2, v4, 0
	v_add_u32_e32 v9, 0x2c0, v12
	v_lshlrev_b64 v[0:1], 3, v[10:11]
	v_mad_u64_u32 v[3:4], s[0:1], s3, v4, v[3:4]
	v_mad_u64_u32 v[4:5], s[0:1], s2, v9, 0
	v_add_co_u32_e32 v0, vcc, v6, v0
	v_addc_co_u32_e32 v1, vcc, v13, v1, vcc
	global_store_dwordx2 v[0:1], v[33:34], off
	v_lshlrev_b64 v[0:1], 3, v[2:3]
	v_mov_b32_e32 v2, v5
	v_mad_u64_u32 v[2:3], s[0:1], s3, v9, v[2:3]
	v_add_co_u32_e32 v0, vcc, v6, v0
	v_fmac_f32_e32 v32, 0x3e9e377a, v51
	v_addc_co_u32_e32 v1, vcc, v13, v1, vcc
	v_mov_b32_e32 v5, v2
	global_store_dwordx2 v[0:1], v[31:32], off
	v_lshlrev_b64 v[0:1], 3, v[4:5]
	v_add_u32_e32 v4, 0x420, v12
	v_mad_u64_u32 v[2:3], s[0:1], s2, v4, 0
	v_add_u32_e32 v9, 0x580, v12
	v_add_co_u32_e32 v0, vcc, v6, v0
	v_mad_u64_u32 v[3:4], s[0:1], s3, v4, v[3:4]
	v_mad_u64_u32 v[4:5], s[0:1], s2, v9, 0
	v_fmac_f32_e32 v7, 0x3e9e377a, v50
	v_addc_co_u32_e32 v1, vcc, v13, v1, vcc
	global_store_dwordx2 v[0:1], v[7:8], off
	v_lshlrev_b64 v[0:1], 3, v[2:3]
	v_mov_b32_e32 v2, v5
	v_mad_u64_u32 v[2:3], s[0:1], s3, v9, v[2:3]
	v_add_co_u32_e32 v0, vcc, v6, v0
	v_fmac_f32_e32 v29, 0x3e9e377a, v50
	v_addc_co_u32_e32 v1, vcc, v13, v1, vcc
	v_mov_b32_e32 v5, v2
	global_store_dwordx2 v[0:1], v[29:30], off
	v_lshlrev_b64 v[0:1], 3, v[4:5]
	v_fmac_f32_e32 v18, 0x3e9e377a, v51
	v_add_co_u32_e32 v0, vcc, v6, v0
	v_addc_co_u32_e32 v1, vcc, v13, v1, vcc
	global_store_dwordx2 v[0:1], v[17:18], off
.LBB0_23:
	s_endpgm
	.section	.rodata,"a",@progbits
	.p2align	6, 0x0
	.amdhsa_kernel fft_rtc_back_len1760_factors_2_2_2_2_2_11_5_wgs_176_tpt_176_halfLds_sp_op_CI_CI_sbrr_dirReg
		.amdhsa_group_segment_fixed_size 0
		.amdhsa_private_segment_fixed_size 0
		.amdhsa_kernarg_size 104
		.amdhsa_user_sgpr_count 6
		.amdhsa_user_sgpr_private_segment_buffer 1
		.amdhsa_user_sgpr_dispatch_ptr 0
		.amdhsa_user_sgpr_queue_ptr 0
		.amdhsa_user_sgpr_kernarg_segment_ptr 1
		.amdhsa_user_sgpr_dispatch_id 0
		.amdhsa_user_sgpr_flat_scratch_init 0
		.amdhsa_user_sgpr_private_segment_size 0
		.amdhsa_uses_dynamic_stack 0
		.amdhsa_system_sgpr_private_segment_wavefront_offset 0
		.amdhsa_system_sgpr_workgroup_id_x 1
		.amdhsa_system_sgpr_workgroup_id_y 0
		.amdhsa_system_sgpr_workgroup_id_z 0
		.amdhsa_system_sgpr_workgroup_info 0
		.amdhsa_system_vgpr_workitem_id 0
		.amdhsa_next_free_vgpr 67
		.amdhsa_next_free_sgpr 32
		.amdhsa_reserve_vcc 1
		.amdhsa_reserve_flat_scratch 0
		.amdhsa_float_round_mode_32 0
		.amdhsa_float_round_mode_16_64 0
		.amdhsa_float_denorm_mode_32 3
		.amdhsa_float_denorm_mode_16_64 3
		.amdhsa_dx10_clamp 1
		.amdhsa_ieee_mode 1
		.amdhsa_fp16_overflow 0
		.amdhsa_exception_fp_ieee_invalid_op 0
		.amdhsa_exception_fp_denorm_src 0
		.amdhsa_exception_fp_ieee_div_zero 0
		.amdhsa_exception_fp_ieee_overflow 0
		.amdhsa_exception_fp_ieee_underflow 0
		.amdhsa_exception_fp_ieee_inexact 0
		.amdhsa_exception_int_div_zero 0
	.end_amdhsa_kernel
	.text
.Lfunc_end0:
	.size	fft_rtc_back_len1760_factors_2_2_2_2_2_11_5_wgs_176_tpt_176_halfLds_sp_op_CI_CI_sbrr_dirReg, .Lfunc_end0-fft_rtc_back_len1760_factors_2_2_2_2_2_11_5_wgs_176_tpt_176_halfLds_sp_op_CI_CI_sbrr_dirReg
                                        ; -- End function
	.section	.AMDGPU.csdata,"",@progbits
; Kernel info:
; codeLenInByte = 9076
; NumSgprs: 36
; NumVgprs: 67
; ScratchSize: 0
; MemoryBound: 0
; FloatMode: 240
; IeeeMode: 1
; LDSByteSize: 0 bytes/workgroup (compile time only)
; SGPRBlocks: 4
; VGPRBlocks: 16
; NumSGPRsForWavesPerEU: 36
; NumVGPRsForWavesPerEU: 67
; Occupancy: 3
; WaveLimiterHint : 1
; COMPUTE_PGM_RSRC2:SCRATCH_EN: 0
; COMPUTE_PGM_RSRC2:USER_SGPR: 6
; COMPUTE_PGM_RSRC2:TRAP_HANDLER: 0
; COMPUTE_PGM_RSRC2:TGID_X_EN: 1
; COMPUTE_PGM_RSRC2:TGID_Y_EN: 0
; COMPUTE_PGM_RSRC2:TGID_Z_EN: 0
; COMPUTE_PGM_RSRC2:TIDIG_COMP_CNT: 0
	.type	__hip_cuid_42cc856c1dc8633b,@object ; @__hip_cuid_42cc856c1dc8633b
	.section	.bss,"aw",@nobits
	.globl	__hip_cuid_42cc856c1dc8633b
__hip_cuid_42cc856c1dc8633b:
	.byte	0                               ; 0x0
	.size	__hip_cuid_42cc856c1dc8633b, 1

	.ident	"AMD clang version 19.0.0git (https://github.com/RadeonOpenCompute/llvm-project roc-6.4.0 25133 c7fe45cf4b819c5991fe208aaa96edf142730f1d)"
	.section	".note.GNU-stack","",@progbits
	.addrsig
	.addrsig_sym __hip_cuid_42cc856c1dc8633b
	.amdgpu_metadata
---
amdhsa.kernels:
  - .args:
      - .actual_access:  read_only
        .address_space:  global
        .offset:         0
        .size:           8
        .value_kind:     global_buffer
      - .offset:         8
        .size:           8
        .value_kind:     by_value
      - .actual_access:  read_only
        .address_space:  global
        .offset:         16
        .size:           8
        .value_kind:     global_buffer
      - .actual_access:  read_only
        .address_space:  global
        .offset:         24
        .size:           8
        .value_kind:     global_buffer
      - .actual_access:  read_only
        .address_space:  global
        .offset:         32
        .size:           8
        .value_kind:     global_buffer
      - .offset:         40
        .size:           8
        .value_kind:     by_value
      - .actual_access:  read_only
        .address_space:  global
        .offset:         48
        .size:           8
        .value_kind:     global_buffer
      - .actual_access:  read_only
        .address_space:  global
        .offset:         56
        .size:           8
        .value_kind:     global_buffer
      - .offset:         64
        .size:           4
        .value_kind:     by_value
      - .actual_access:  read_only
        .address_space:  global
        .offset:         72
        .size:           8
        .value_kind:     global_buffer
      - .actual_access:  read_only
        .address_space:  global
        .offset:         80
        .size:           8
        .value_kind:     global_buffer
      - .actual_access:  read_only
        .address_space:  global
        .offset:         88
        .size:           8
        .value_kind:     global_buffer
      - .actual_access:  write_only
        .address_space:  global
        .offset:         96
        .size:           8
        .value_kind:     global_buffer
    .group_segment_fixed_size: 0
    .kernarg_segment_align: 8
    .kernarg_segment_size: 104
    .language:       OpenCL C
    .language_version:
      - 2
      - 0
    .max_flat_workgroup_size: 176
    .name:           fft_rtc_back_len1760_factors_2_2_2_2_2_11_5_wgs_176_tpt_176_halfLds_sp_op_CI_CI_sbrr_dirReg
    .private_segment_fixed_size: 0
    .sgpr_count:     36
    .sgpr_spill_count: 0
    .symbol:         fft_rtc_back_len1760_factors_2_2_2_2_2_11_5_wgs_176_tpt_176_halfLds_sp_op_CI_CI_sbrr_dirReg.kd
    .uniform_work_group_size: 1
    .uses_dynamic_stack: false
    .vgpr_count:     67
    .vgpr_spill_count: 0
    .wavefront_size: 64
amdhsa.target:   amdgcn-amd-amdhsa--gfx906
amdhsa.version:
  - 1
  - 2
...

	.end_amdgpu_metadata
